;; amdgpu-corpus repo=ROCm/rocFFT kind=compiled arch=gfx950 opt=O3
	.text
	.amdgcn_target "amdgcn-amd-amdhsa--gfx950"
	.amdhsa_code_object_version 6
	.protected	fft_rtc_fwd_len243_factors_3_3_3_3_3_wgs_216_tpt_27_dp_op_CI_CI_sbrc_erc_z_xy_aligned ; -- Begin function fft_rtc_fwd_len243_factors_3_3_3_3_3_wgs_216_tpt_27_dp_op_CI_CI_sbrc_erc_z_xy_aligned
	.globl	fft_rtc_fwd_len243_factors_3_3_3_3_3_wgs_216_tpt_27_dp_op_CI_CI_sbrc_erc_z_xy_aligned
	.p2align	8
	.type	fft_rtc_fwd_len243_factors_3_3_3_3_3_wgs_216_tpt_27_dp_op_CI_CI_sbrc_erc_z_xy_aligned,@function
fft_rtc_fwd_len243_factors_3_3_3_3_3_wgs_216_tpt_27_dp_op_CI_CI_sbrc_erc_z_xy_aligned: ; @fft_rtc_fwd_len243_factors_3_3_3_3_3_wgs_216_tpt_27_dp_op_CI_CI_sbrc_erc_z_xy_aligned
; %bb.0:
	s_load_dwordx8 s[4:11], s[0:1], 0x0
	v_mov_b32_e32 v57, 7
	v_mov_b32_e32 v58, 5
	;; [unrolled: 1-line block ×3, first 2 shown]
	v_cmp_gt_u32_e32 vcc, 8, v0
	s_waitcnt lgkmcnt(0)
	s_load_dwordx4 s[12:15], s[8:9], 0x8
	s_load_dwordx4 s[16:19], s[10:11], 0x0
	s_load_dword s24, s[10:11], 0x10
	s_waitcnt lgkmcnt(0)
	s_add_i32 s3, s12, -1
	s_lshr_b32 s3, s3, 3
	s_add_i32 s22, s3, 1
	s_mul_i32 s23, s22, s14
	v_cvt_f32_u32_e32 v2, s23
	s_load_dwordx2 s[8:9], s[0:1], 0x20
	v_cvt_f32_u32_e32 v1, s22
	s_waitcnt lgkmcnt(0)
	s_load_dwordx4 s[12:15], s[8:9], 0x0
	s_load_dwordx2 s[20:21], s[8:9], 0x10
	v_rcp_iflag_f32_e32 v2, v2
	s_waitcnt lgkmcnt(0)
	s_sub_i32 s15, 0, s23
	v_rcp_iflag_f32_e32 v1, v1
	v_mul_f32_e32 v2, 0x4f7ffffe, v2
	v_cvt_u32_f32_e32 v2, v2
	v_mul_f32_e32 v1, 0x4f7ffffe, v1
	v_cvt_u32_f32_e32 v1, v1
	v_readfirstlane_b32 s19, v2
	s_mul_i32 s15, s15, s19
	s_mul_hi_u32 s15, s19, s15
	s_add_i32 s19, s19, s15
	s_mul_hi_u32 s15, s2, s19
	s_mul_i32 s19, s15, s23
	s_sub_i32 s19, s2, s19
	s_add_i32 s25, s15, 1
	s_sub_i32 s26, s19, s23
	s_cmp_ge_u32 s19, s23
	s_cselect_b32 s15, s25, s15
	s_cselect_b32 s19, s26, s19
	s_add_i32 s25, s15, 1
	s_cmp_ge_u32 s19, s23
	v_readfirstlane_b32 s21, v1
	s_cselect_b32 s19, s25, s15
	s_not_b32 s3, s3
	s_mul_i32 s3, s3, s21
	s_mul_i32 s15, s19, s23
	s_mul_hi_u32 s3, s21, s3
	s_sub_i32 s15, s2, s15
	s_add_i32 s3, s21, s3
	s_mul_hi_u32 s21, s15, s3
	s_mul_i32 s23, s21, s22
	s_sub_i32 s15, s15, s23
	s_add_i32 s23, s21, 1
	s_sub_i32 s25, s15, s22
	s_cmp_ge_u32 s15, s22
	s_cselect_b32 s21, s23, s21
	s_cselect_b32 s15, s25, s15
	s_add_i32 s23, s21, 1
	s_mul_hi_u32 s3, s2, s3
	s_cmp_ge_u32 s15, s22
	s_mul_i32 s3, s3, s22
	s_cselect_b32 s21, s23, s21
	s_sub_i32 s2, s2, s3
	s_sub_i32 s3, s2, s22
	s_cmp_ge_u32 s2, s22
	s_cselect_b32 s2, s3, s2
	s_sub_i32 s3, s2, s22
	s_cmp_ge_u32 s2, s22
	s_cselect_b32 s2, s3, s2
	s_lshl_b32 s22, s2, 3
	s_mul_i32 s3, s21, s24
	s_mul_i32 s2, s22, s18
	s_add_i32 s2, s2, s3
	s_mul_i32 s3, s13, s22
	s_mul_hi_u32 s15, s12, s22
	s_add_i32 s15, s15, s3
	s_lshl_b64 s[6:7], s[6:7], 3
	s_add_u32 s10, s10, s6
	s_addc_u32 s11, s11, s7
	s_load_dwordx2 s[24:25], s[10:11], 0x0
	v_mul_u32_u24_e32 v1, 0x10e, v0
	v_lshrrev_b32_e32 v1, 16, v1
	v_mul_lo_u16_e32 v2, 0xf3, v1
	v_sub_u16_e32 v40, v0, v2
	s_waitcnt lgkmcnt(0)
	s_mul_i32 s3, s25, s19
	s_mul_hi_u32 s10, s24, s19
	s_add_i32 s25, s10, s3
	s_add_u32 s26, s8, s6
	s_addc_u32 s27, s9, s7
	s_load_dwordx2 s[6:7], s[26:27], 0x0
	s_load_dwordx4 s[8:11], s[0:1], 0x58
	s_mul_i32 s24, s24, s19
	s_lshl_b64 s[24:25], s[24:25], 4
	s_mov_b32 s3, 0
	s_waitcnt lgkmcnt(0)
	s_mul_i32 s0, s7, s19
	s_mul_hi_u32 s1, s6, s19
	s_add_i32 s1, s1, s0
	v_mad_u64_u32 v[4:5], s[26:27], s16, v40, 0
	s_add_u32 s0, s8, s24
	v_mov_b32_e32 v2, v5
	s_addc_u32 s7, s9, s25
	s_lshl_b64 s[8:9], s[2:3], 4
	v_mad_u64_u32 v[2:3], s[26:27], s17, v40, v[2:3]
	s_add_u32 s8, s0, s8
	v_mov_b32_e32 v5, v2
	s_addc_u32 s9, s7, s9
	v_mul_lo_u32 v2, s18, v1
	v_mov_b32_e32 v3, 0
	v_lshl_add_u64 v[4:5], v[4:5], 4, s[8:9]
	v_lshl_add_u64 v[12:13], v[2:3], 4, v[4:5]
	v_add_u16_e32 v2, 0xd8, v0
	v_mul_u32_u24_e32 v4, 0x10e, v2
	v_lshrrev_b32_e32 v41, 16, v4
	v_mul_lo_u16_e32 v4, 0xf3, v41
	v_sub_u16_e32 v42, v2, v4
	v_mad_u64_u32 v[4:5], s[24:25], s16, v42, 0
	v_mov_b32_e32 v2, v5
	v_mad_u64_u32 v[6:7], s[24:25], s17, v42, v[2:3]
	v_mov_b32_e32 v5, v6
	v_mul_lo_u32 v2, s18, v41
	v_lshl_add_u64 v[4:5], v[4:5], 4, s[8:9]
	v_lshl_add_u64 v[14:15], v[2:3], 4, v[4:5]
	v_add_u16_e32 v2, 0x1b0, v0
	global_load_dwordx4 v[4:7], v[12:13], off
	global_load_dwordx4 v[8:11], v[14:15], off
	v_mul_u32_u24_e32 v12, 0x437, v2
	v_lshrrev_b32_e32 v43, 18, v12
	v_mul_lo_u16_e32 v12, 0xf3, v43
	v_sub_u16_e32 v44, v2, v12
	v_mad_u64_u32 v[12:13], s[24:25], s16, v44, 0
	v_mov_b32_e32 v2, v13
	v_mad_u64_u32 v[14:15], s[24:25], s17, v44, v[2:3]
	v_mov_b32_e32 v13, v14
	v_mul_lo_u32 v2, s18, v43
	v_lshl_add_u64 v[12:13], v[12:13], 4, s[8:9]
	v_lshl_add_u64 v[20:21], v[2:3], 4, v[12:13]
	v_add_u16_e32 v2, 0x288, v0
	v_mul_u32_u24_e32 v12, 0x437, v2
	v_lshrrev_b32_e32 v45, 18, v12
	v_mul_lo_u16_e32 v12, 0xf3, v45
	v_sub_u16_e32 v46, v2, v12
	v_mad_u64_u32 v[12:13], s[24:25], s16, v46, 0
	v_mov_b32_e32 v2, v13
	v_mad_u64_u32 v[14:15], s[24:25], s17, v46, v[2:3]
	v_mov_b32_e32 v13, v14
	v_mul_lo_u32 v2, s18, v45
	v_lshl_add_u64 v[12:13], v[12:13], 4, s[8:9]
	v_lshl_add_u64 v[22:23], v[2:3], 4, v[12:13]
	v_add_u16_e32 v2, 0x360, v0
	global_load_dwordx4 v[12:15], v[20:21], off
	global_load_dwordx4 v[16:19], v[22:23], off
	v_mul_u32_u24_e32 v20, 0x437, v2
	v_lshrrev_b32_e32 v47, 18, v20
	v_mul_lo_u16_e32 v20, 0xf3, v47
	v_sub_u16_e32 v48, v2, v20
	v_mad_u64_u32 v[20:21], s[24:25], s16, v48, 0
	v_mov_b32_e32 v2, v21
	v_mad_u64_u32 v[22:23], s[24:25], s17, v48, v[2:3]
	v_mov_b32_e32 v21, v22
	v_mul_lo_u32 v2, s18, v47
	;; [unrolled: 26-line block ×4, first 2 shown]
	v_lshl_add_u64 v[36:37], v[36:37], 4, s[8:9]
	v_lshl_add_u64 v[36:37], v[2:3], 4, v[36:37]
	global_load_dwordx4 v[36:39], v[36:37], off
	v_mul_u32_u24_e32 v1, 0xf40, v1
	v_lshlrev_b32_e32 v40, 4, v40
	v_add3_u32 v1, 0, v1, v40
	s_waitcnt vmcnt(8)
	ds_write_b128 v1, v[4:7]
	v_mul_u32_u24_e32 v1, 0xf40, v41
	v_lshlrev_b32_e32 v4, 4, v42
	v_add3_u32 v1, 0, v1, v4
	s_waitcnt vmcnt(7)
	ds_write_b128 v1, v[8:11]
	v_mul_u32_u24_e32 v1, 0xf40, v43
	v_lshlrev_b32_e32 v4, 4, v44
	v_add3_u32 v1, 0, v1, v4
	s_waitcnt vmcnt(6)
	ds_write_b128 v1, v[12:15]
	v_mul_u32_u24_e32 v1, 0xf40, v45
	v_lshlrev_b32_e32 v4, 4, v46
	v_add3_u32 v1, 0, v1, v4
	s_waitcnt vmcnt(5)
	ds_write_b128 v1, v[16:19]
	v_mul_u32_u24_e32 v1, 0xf40, v47
	v_lshlrev_b32_e32 v4, 4, v48
	v_add3_u32 v1, 0, v1, v4
	v_lshlrev_b32_e32 v4, 4, v50
	v_mul_u32_u24_e32 v2, 0x97c, v0
	v_and_b32_sdwa v57, v2, v57 dst_sel:DWORD dst_unused:UNUSED_PAD src0_sel:WORD_1 src1_sel:DWORD
	v_mul_lo_u16_e32 v57, 0xf4, v57
	v_lshlrev_b32_e32 v8, 4, v57
	s_mov_b32 s8, 0xe8584caa
	s_mov_b32 s9, 0x3febb67a
	;; [unrolled: 1-line block ×4, first 2 shown]
	s_movk_i32 s0, 0xab
	s_movk_i32 s2, 0xf40
	s_waitcnt vmcnt(4)
	ds_write_b128 v1, v[20:23]
	v_mul_u32_u24_e32 v1, 0xf40, v49
	v_add3_u32 v1, 0, v1, v4
	s_waitcnt vmcnt(3)
	ds_write_b128 v1, v[24:27]
	v_mul_u32_u24_e32 v1, 0xf40, v51
	v_lshlrev_b32_e32 v4, 4, v52
	v_add3_u32 v1, 0, v1, v4
	v_lshlrev_b32_e32 v4, 4, v54
	s_waitcnt vmcnt(2)
	ds_write_b128 v1, v[28:31]
	v_mul_u32_u24_e32 v1, 0xf40, v53
	v_add3_u32 v1, 0, v1, v4
	s_waitcnt vmcnt(1)
	ds_write_b128 v1, v[32:35]
	v_mul_u32_u24_e32 v1, 0xf40, v55
	v_lshlrev_b32_e32 v4, 4, v56
	v_add3_u32 v1, 0, v1, v4
	v_add_u32_e32 v4, 0, v8
	s_waitcnt vmcnt(0)
	ds_write_b128 v1, v[36:39]
	v_mov_b32_e32 v1, 27
	v_mul_lo_u16_sdwa v1, v2, v1 dst_sel:DWORD dst_unused:UNUSED_PAD src0_sel:WORD_1 src1_sel:DWORD
	v_sub_u16_e32 v9, v0, v1
	v_lshlrev_b32_e32 v1, 4, v9
	v_add_u32_e32 v2, v4, v1
	s_waitcnt lgkmcnt(0)
	s_barrier
	v_add3_u32 v1, 0, v1, v8
	ds_read_b128 v[10:13], v2
	ds_read_b128 v[14:17], v1 offset:432
	ds_read_b128 v[18:21], v1 offset:2592
	ds_read_b128 v[22:25], v1 offset:3024
	ds_read_b128 v[26:29], v1 offset:1296
	ds_read_b128 v[30:33], v1 offset:864
	ds_read_b128 v[34:37], v1 offset:1728
	ds_read_b128 v[38:41], v1 offset:2160
	ds_read_b128 v[42:45], v1 offset:3456
	s_waitcnt lgkmcnt(4)
	v_add_f64 v[6:7], v[10:11], v[26:27]
	v_add_f64 v[46:47], v[6:7], v[18:19]
	;; [unrolled: 1-line block ×3, first 2 shown]
	v_fmac_f64_e32 v[10:11], -0.5, v[6:7]
	v_add_f64 v[6:7], v[28:29], -v[20:21]
	v_fma_f64 v[50:51], s[8:9], v[6:7], v[10:11]
	v_fmac_f64_e32 v[10:11], s[16:17], v[6:7]
	v_add_f64 v[6:7], v[12:13], v[28:29]
	v_add_f64 v[48:49], v[6:7], v[20:21]
	;; [unrolled: 1-line block ×3, first 2 shown]
	v_fmac_f64_e32 v[12:13], -0.5, v[6:7]
	v_add_f64 v[6:7], v[26:27], -v[18:19]
	v_fma_f64 v[52:53], s[16:17], v[6:7], v[12:13]
	v_fmac_f64_e32 v[12:13], s[8:9], v[6:7]
	s_waitcnt lgkmcnt(2)
	v_add_f64 v[6:7], v[14:15], v[34:35]
	v_add_f64 v[18:19], v[6:7], v[22:23]
	;; [unrolled: 1-line block ×3, first 2 shown]
	v_fmac_f64_e32 v[14:15], -0.5, v[6:7]
	v_add_f64 v[6:7], v[36:37], -v[24:25]
	v_fma_f64 v[26:27], s[8:9], v[6:7], v[14:15]
	v_fmac_f64_e32 v[14:15], s[16:17], v[6:7]
	v_add_f64 v[6:7], v[16:17], v[36:37]
	v_add_f64 v[20:21], v[6:7], v[24:25]
	;; [unrolled: 1-line block ×3, first 2 shown]
	v_fmac_f64_e32 v[16:17], -0.5, v[6:7]
	v_add_f64 v[6:7], v[34:35], -v[22:23]
	v_fma_f64 v[28:29], s[16:17], v[6:7], v[16:17]
	v_fmac_f64_e32 v[16:17], s[8:9], v[6:7]
	s_waitcnt lgkmcnt(1)
	v_add_f64 v[6:7], v[30:31], v[38:39]
	s_waitcnt lgkmcnt(0)
	v_add_f64 v[22:23], v[6:7], v[42:43]
	v_add_f64 v[6:7], v[38:39], v[42:43]
	v_fmac_f64_e32 v[30:31], -0.5, v[6:7]
	v_add_f64 v[6:7], v[40:41], -v[44:45]
	v_fma_f64 v[34:35], s[8:9], v[6:7], v[30:31]
	v_fmac_f64_e32 v[30:31], s[16:17], v[6:7]
	v_add_f64 v[6:7], v[32:33], v[40:41]
	v_add_f64 v[24:25], v[6:7], v[44:45]
	;; [unrolled: 1-line block ×3, first 2 shown]
	v_fmac_f64_e32 v[32:33], -0.5, v[6:7]
	v_add_f64 v[6:7], v[38:39], -v[42:43]
	v_lshlrev_b32_e32 v5, 5, v9
	v_fma_f64 v[36:37], s[16:17], v[6:7], v[32:33]
	v_fmac_f64_e32 v[32:33], s[8:9], v[6:7]
	v_add_u32_e32 v6, v1, v5
	s_barrier
	ds_write_b128 v6, v[46:49]
	ds_write_b128 v6, v[50:53] offset:16
	ds_write_b128 v6, v[10:13] offset:32
	;; [unrolled: 1-line block ×6, first 2 shown]
	v_add_u32_e32 v6, 0x800, v6
	ds_write2_b64 v6, v[34:35], v[36:37] offset0:70 offset1:71
	ds_write2_b64 v6, v[30:31], v[32:33] offset0:72 offset1:73
	v_mul_lo_u16_sdwa v6, v9, s0 dst_sel:DWORD dst_unused:UNUSED_PAD src0_sel:BYTE_0 src1_sel:DWORD
	v_lshrrev_b16_e32 v56, 9, v6
	v_mul_lo_u16_e32 v6, 3, v56
	v_sub_u16_e32 v57, v9, v6
	v_lshlrev_b32_sdwa v6, v58, v57 dst_sel:DWORD dst_unused:UNUSED_PAD src0_sel:DWORD src1_sel:BYTE_0
	s_waitcnt lgkmcnt(0)
	s_barrier
	global_load_dwordx4 v[10:13], v6, s[4:5]
	global_load_dwordx4 v[14:17], v6, s[4:5] offset:16
	v_add_u32_e32 v6, 27, v9
	v_mul_lo_u16_sdwa v7, v6, s0 dst_sel:DWORD dst_unused:UNUSED_PAD src0_sel:BYTE_0 src1_sel:DWORD
	v_lshrrev_b16_e32 v59, 9, v7
	v_mul_lo_u16_e32 v7, 3, v59
	v_sub_u16_e32 v60, v6, v7
	v_lshlrev_b32_sdwa v7, v58, v60 dst_sel:DWORD dst_unused:UNUSED_PAD src0_sel:DWORD src1_sel:BYTE_0
	global_load_dwordx4 v[18:21], v7, s[4:5]
	global_load_dwordx4 v[22:25], v7, s[4:5] offset:16
	ds_read_b128 v[26:29], v1 offset:1296
	ds_read_b128 v[30:33], v1 offset:2592
	;; [unrolled: 1-line block ×6, first 2 shown]
	v_add_u32_e32 v7, 54, v9
	s_waitcnt vmcnt(3) lgkmcnt(5)
	v_mul_f64 v[50:51], v[28:29], v[12:13]
	v_fma_f64 v[50:51], v[26:27], v[10:11], -v[50:51]
	v_mul_f64 v[26:27], v[26:27], v[12:13]
	v_fmac_f64_e32 v[26:27], v[28:29], v[10:11]
	s_waitcnt vmcnt(2) lgkmcnt(4)
	v_mul_f64 v[10:11], v[32:33], v[16:17]
	v_fma_f64 v[28:29], v[30:31], v[14:15], -v[10:11]
	v_mul_lo_u16_sdwa v10, v7, s0 dst_sel:DWORD dst_unused:UNUSED_PAD src0_sel:BYTE_0 src1_sel:DWORD
	v_lshrrev_b16_e32 v61, 9, v10
	v_mul_lo_u16_e32 v10, 3, v61
	v_sub_u16_e32 v62, v7, v10
	v_mul_f64 v[30:31], v[30:31], v[16:17]
	v_lshlrev_b32_sdwa v16, v58, v62 dst_sel:DWORD dst_unused:UNUSED_PAD src0_sel:DWORD src1_sel:BYTE_0
	global_load_dwordx4 v[10:13], v16, s[4:5]
	v_fmac_f64_e32 v[30:31], v[32:33], v[14:15]
	s_waitcnt vmcnt(2) lgkmcnt(1)
	v_mul_f64 v[14:15], v[44:45], v[20:21]
	v_fma_f64 v[52:53], v[42:43], v[18:19], -v[14:15]
	global_load_dwordx4 v[14:17], v16, s[4:5] offset:16
	v_mul_f64 v[42:43], v[42:43], v[20:21]
	v_fmac_f64_e32 v[42:43], v[44:45], v[18:19]
	s_waitcnt vmcnt(2)
	v_mul_f64 v[18:19], v[36:37], v[24:25]
	v_fma_f64 v[44:45], v[34:35], v[22:23], -v[18:19]
	v_mul_f64 v[34:35], v[34:35], v[24:25]
	v_fmac_f64_e32 v[34:35], v[36:37], v[22:23]
	ds_read_b128 v[18:21], v1 offset:3456
	s_movk_i32 s0, 0x90
	s_waitcnt vmcnt(1) lgkmcnt(1)
	v_mul_f64 v[22:23], v[48:49], v[12:13]
	v_fma_f64 v[36:37], v[46:47], v[10:11], -v[22:23]
	v_mul_f64 v[46:47], v[46:47], v[12:13]
	v_fmac_f64_e32 v[46:47], v[48:49], v[10:11]
	ds_read_b128 v[10:13], v2
	s_waitcnt vmcnt(0) lgkmcnt(1)
	v_mul_f64 v[22:23], v[20:21], v[16:17]
	v_fma_f64 v[48:49], v[18:19], v[14:15], -v[22:23]
	v_mul_f64 v[54:55], v[18:19], v[16:17]
	v_add_f64 v[18:19], v[50:51], v[28:29]
	v_fmac_f64_e32 v[54:55], v[20:21], v[14:15]
	ds_read_b128 v[14:17], v1 offset:432
	s_waitcnt lgkmcnt(1)
	v_add_f64 v[20:21], v[10:11], v[50:51]
	v_fmac_f64_e32 v[10:11], -0.5, v[18:19]
	v_add_f64 v[22:23], v[26:27], -v[30:31]
	v_fma_f64 v[18:19], s[8:9], v[22:23], v[10:11]
	v_fmac_f64_e32 v[10:11], s[16:17], v[22:23]
	v_add_f64 v[22:23], v[20:21], v[28:29]
	v_add_f64 v[20:21], v[12:13], v[26:27]
	;; [unrolled: 1-line block ×4, first 2 shown]
	v_fmac_f64_e32 v[12:13], -0.5, v[20:21]
	v_add_f64 v[26:27], v[50:51], -v[28:29]
	v_fma_f64 v[20:21], s[16:17], v[26:27], v[12:13]
	v_fmac_f64_e32 v[12:13], s[8:9], v[26:27]
	v_add_f64 v[26:27], v[52:53], v[44:45]
	s_waitcnt lgkmcnt(0)
	v_add_f64 v[28:29], v[14:15], v[52:53]
	v_fmac_f64_e32 v[14:15], -0.5, v[26:27]
	v_add_f64 v[30:31], v[42:43], -v[34:35]
	v_fma_f64 v[26:27], s[8:9], v[30:31], v[14:15]
	v_fmac_f64_e32 v[14:15], s[16:17], v[30:31]
	v_add_f64 v[30:31], v[28:29], v[44:45]
	v_add_f64 v[28:29], v[16:17], v[42:43]
	;; [unrolled: 1-line block ×4, first 2 shown]
	v_fmac_f64_e32 v[16:17], -0.5, v[28:29]
	v_add_f64 v[34:35], v[52:53], -v[44:45]
	v_fma_f64 v[28:29], s[16:17], v[34:35], v[16:17]
	v_fmac_f64_e32 v[16:17], s[8:9], v[34:35]
	v_add_f64 v[34:35], v[36:37], v[48:49]
	v_add_f64 v[42:43], v[38:39], v[36:37]
	v_fmac_f64_e32 v[38:39], -0.5, v[34:35]
	v_add_f64 v[44:45], v[46:47], -v[54:55]
	v_fma_f64 v[34:35], s[8:9], v[44:45], v[38:39]
	v_fmac_f64_e32 v[38:39], s[16:17], v[44:45]
	v_add_f64 v[44:45], v[40:41], v[46:47]
	v_add_f64 v[46:47], v[46:47], v[54:55]
	v_fmac_f64_e32 v[40:41], -0.5, v[46:47]
	v_add_f64 v[46:47], v[36:37], -v[48:49]
	v_fma_f64 v[36:37], s[16:17], v[46:47], v[40:41]
	v_fmac_f64_e32 v[40:41], s[8:9], v[46:47]
	v_mad_u32_u24 v46, v56, s0, 0
	v_lshlrev_b32_sdwa v47, v63, v57 dst_sel:DWORD dst_unused:UNUSED_PAD src0_sel:DWORD src1_sel:BYTE_0
	v_add3_u32 v46, v46, v47, v8
	s_barrier
	ds_write_b128 v46, v[22:25]
	ds_write_b128 v46, v[18:21] offset:48
	ds_write_b128 v46, v[10:13] offset:96
	v_mad_u32_u24 v10, v59, s0, 0
	v_lshlrev_b32_sdwa v11, v63, v60 dst_sel:DWORD dst_unused:UNUSED_PAD src0_sel:DWORD src1_sel:BYTE_0
	v_add3_u32 v10, v10, v11, v8
	ds_write_b128 v10, v[30:33]
	ds_write_b128 v10, v[26:29] offset:48
	ds_write_b128 v10, v[14:17] offset:96
	v_mad_u32_u24 v10, v61, s0, 0
	v_lshlrev_b32_sdwa v11, v63, v62 dst_sel:DWORD dst_unused:UNUSED_PAD src0_sel:DWORD src1_sel:BYTE_0
	v_add_f64 v[42:43], v[42:43], v[48:49]
	v_add_f64 v[44:45], v[44:45], v[54:55]
	v_add3_u32 v10, v10, v11, v8
	v_mov_b32_e32 v48, 57
	ds_write_b128 v10, v[42:45]
	ds_write_b128 v10, v[34:37] offset:48
	ds_write_b128 v10, v[38:41] offset:96
	v_mul_lo_u16_sdwa v10, v9, v48 dst_sel:DWORD dst_unused:UNUSED_PAD src0_sel:BYTE_0 src1_sel:DWORD
	v_lshrrev_b16_e32 v60, 9, v10
	v_mul_lo_u16_e32 v10, 9, v60
	v_sub_u16_e32 v9, v9, v10
	v_lshlrev_b32_sdwa v18, v58, v9 dst_sel:DWORD dst_unused:UNUSED_PAD src0_sel:DWORD src1_sel:BYTE_0
	s_waitcnt lgkmcnt(0)
	s_barrier
	global_load_dwordx4 v[10:13], v18, s[4:5] offset:96
	global_load_dwordx4 v[14:17], v18, s[4:5] offset:112
	v_mul_lo_u16_sdwa v18, v6, v48 dst_sel:DWORD dst_unused:UNUSED_PAD src0_sel:BYTE_0 src1_sel:DWORD
	v_lshrrev_b16_e32 v61, 9, v18
	v_mul_lo_u16_e32 v18, 9, v61
	v_sub_u16_e32 v62, v6, v18
	v_lshlrev_b32_sdwa v26, v58, v62 dst_sel:DWORD dst_unused:UNUSED_PAD src0_sel:DWORD src1_sel:BYTE_0
	global_load_dwordx4 v[18:21], v26, s[4:5] offset:96
	ds_read_b128 v[22:25], v1 offset:1296
	global_load_dwordx4 v[26:29], v26, s[4:5] offset:112
	ds_read_b128 v[30:33], v1 offset:2592
	ds_read_b128 v[34:37], v1 offset:3024
	;; [unrolled: 1-line block ×3, first 2 shown]
	s_movk_i32 s0, 0x1b0
	v_lshlrev_b32_sdwa v9, v63, v9 dst_sel:DWORD dst_unused:UNUSED_PAD src0_sel:DWORD src1_sel:BYTE_0
	s_waitcnt vmcnt(3) lgkmcnt(3)
	v_mul_f64 v[42:43], v[24:25], v[12:13]
	s_waitcnt vmcnt(2) lgkmcnt(2)
	v_mul_f64 v[46:47], v[32:33], v[16:17]
	v_fma_f64 v[46:47], v[30:31], v[14:15], -v[46:47]
	v_mul_f64 v[30:31], v[30:31], v[16:17]
	v_fmac_f64_e32 v[30:31], v[32:33], v[14:15]
	v_mul_lo_u16_sdwa v14, v7, v48 dst_sel:DWORD dst_unused:UNUSED_PAD src0_sel:BYTE_0 src1_sel:DWORD
	v_lshrrev_b16_e32 v64, 9, v14
	v_mul_lo_u16_e32 v14, 9, v64
	v_mul_f64 v[44:45], v[22:23], v[12:13]
	v_sub_u16_e32 v65, v7, v14
	v_fma_f64 v[42:43], v[22:23], v[10:11], -v[42:43]
	v_fmac_f64_e32 v[44:45], v[24:25], v[10:11]
	ds_read_b128 v[10:13], v1 offset:1728
	ds_read_b128 v[22:25], v1 offset:2160
	v_lshlrev_b32_sdwa v52, v58, v65 dst_sel:DWORD dst_unused:UNUSED_PAD src0_sel:DWORD src1_sel:BYTE_0
	global_load_dwordx4 v[14:17], v52, s[4:5] offset:96
	s_waitcnt vmcnt(2) lgkmcnt(1)
	v_mul_f64 v[32:33], v[12:13], v[20:21]
	v_mul_f64 v[50:51], v[10:11], v[20:21]
	v_fma_f64 v[48:49], v[10:11], v[18:19], -v[32:33]
	v_fmac_f64_e32 v[50:51], v[12:13], v[18:19]
	global_load_dwordx4 v[10:13], v52, s[4:5] offset:112
	s_waitcnt vmcnt(2)
	v_mul_f64 v[18:19], v[36:37], v[28:29]
	v_fma_f64 v[52:53], v[34:35], v[26:27], -v[18:19]
	v_mul_f64 v[28:29], v[34:35], v[28:29]
	ds_read_b128 v[18:21], v1 offset:3456
	v_fmac_f64_e32 v[28:29], v[36:37], v[26:27]
	v_add_f64 v[32:33], v[50:51], -v[28:29]
	v_add_f64 v[34:35], v[48:49], -v[52:53]
	s_waitcnt vmcnt(1) lgkmcnt(1)
	v_mul_f64 v[26:27], v[24:25], v[16:17]
	v_mul_f64 v[54:55], v[22:23], v[16:17]
	v_fma_f64 v[36:37], v[22:23], v[14:15], -v[26:27]
	v_fmac_f64_e32 v[54:55], v[24:25], v[14:15]
	ds_read_b128 v[14:17], v2
	v_add_f64 v[26:27], v[42:43], -v[46:47]
	s_waitcnt vmcnt(0) lgkmcnt(1)
	v_mul_f64 v[22:23], v[20:21], v[12:13]
	v_fma_f64 v[56:57], v[18:19], v[10:11], -v[22:23]
	v_mul_f64 v[58:59], v[18:19], v[12:13]
	v_add_f64 v[18:19], v[42:43], v[46:47]
	v_fmac_f64_e32 v[58:59], v[20:21], v[10:11]
	ds_read_b128 v[10:13], v1 offset:432
	s_waitcnt lgkmcnt(1)
	v_add_f64 v[20:21], v[14:15], v[42:43]
	v_fmac_f64_e32 v[14:15], -0.5, v[18:19]
	v_add_f64 v[22:23], v[44:45], -v[30:31]
	v_fma_f64 v[18:19], s[8:9], v[22:23], v[14:15]
	v_fmac_f64_e32 v[14:15], s[16:17], v[22:23]
	v_add_f64 v[22:23], v[20:21], v[46:47]
	v_add_f64 v[20:21], v[16:17], v[44:45]
	;; [unrolled: 1-line block ×4, first 2 shown]
	v_fmac_f64_e32 v[16:17], -0.5, v[20:21]
	v_fma_f64 v[20:21], s[16:17], v[26:27], v[16:17]
	v_fmac_f64_e32 v[16:17], s[8:9], v[26:27]
	v_add_f64 v[26:27], v[48:49], v[52:53]
	s_waitcnt lgkmcnt(0)
	v_add_f64 v[30:31], v[10:11], v[48:49]
	v_fmac_f64_e32 v[10:11], -0.5, v[26:27]
	v_fma_f64 v[26:27], s[8:9], v[32:33], v[10:11]
	v_fmac_f64_e32 v[10:11], s[16:17], v[32:33]
	v_add_f64 v[32:33], v[12:13], v[50:51]
	v_add_f64 v[32:33], v[32:33], v[28:29]
	;; [unrolled: 1-line block ×3, first 2 shown]
	v_fmac_f64_e32 v[12:13], -0.5, v[28:29]
	v_fma_f64 v[28:29], s[16:17], v[34:35], v[12:13]
	v_fmac_f64_e32 v[12:13], s[8:9], v[34:35]
	v_add_f64 v[34:35], v[36:37], v[56:57]
	v_add_f64 v[42:43], v[38:39], v[36:37]
	v_fmac_f64_e32 v[38:39], -0.5, v[34:35]
	v_add_f64 v[44:45], v[54:55], -v[58:59]
	v_add_f64 v[46:47], v[54:55], v[58:59]
	v_fma_f64 v[34:35], s[8:9], v[44:45], v[38:39]
	v_fmac_f64_e32 v[38:39], s[16:17], v[44:45]
	v_add_f64 v[44:45], v[40:41], v[54:55]
	v_fmac_f64_e32 v[40:41], -0.5, v[46:47]
	v_add_f64 v[46:47], v[36:37], -v[56:57]
	v_fma_f64 v[36:37], s[16:17], v[46:47], v[40:41]
	v_fmac_f64_e32 v[40:41], s[8:9], v[46:47]
	v_mad_u32_u24 v46, v60, s0, 0
	v_add3_u32 v9, v46, v9, v8
	s_barrier
	ds_write_b128 v9, v[22:25]
	ds_write_b128 v9, v[18:21] offset:144
	ds_write_b128 v9, v[14:17] offset:288
	v_mad_u32_u24 v9, v61, s0, 0
	v_lshlrev_b32_sdwa v14, v63, v62 dst_sel:DWORD dst_unused:UNUSED_PAD src0_sel:DWORD src1_sel:BYTE_0
	v_add_f64 v[30:31], v[30:31], v[52:53]
	v_add3_u32 v9, v9, v14, v8
	ds_write_b128 v9, v[30:33]
	ds_write_b128 v9, v[26:29] offset:144
	ds_write_b128 v9, v[10:13] offset:288
	v_mad_u32_u24 v9, v64, s0, 0
	v_lshlrev_b32_sdwa v10, v63, v65 dst_sel:DWORD dst_unused:UNUSED_PAD src0_sel:DWORD src1_sel:BYTE_0
	v_add_f64 v[42:43], v[42:43], v[56:57]
	v_add_f64 v[44:45], v[44:45], v[58:59]
	v_add3_u32 v8, v9, v10, v8
	ds_write_b128 v8, v[42:45]
	ds_write_b128 v8, v[34:37] offset:144
	ds_write_b128 v8, v[38:41] offset:288
	s_waitcnt lgkmcnt(0)
	s_barrier
	global_load_dwordx4 v[8:11], v5, s[4:5] offset:384
	global_load_dwordx4 v[12:15], v5, s[4:5] offset:400
	v_mov_b32_e32 v16, 19
	v_mul_lo_u16_sdwa v16, v7, v16 dst_sel:DWORD dst_unused:UNUSED_PAD src0_sel:BYTE_0 src1_sel:DWORD
	v_lshrrev_b16_e32 v16, 9, v16
	v_mul_lo_u16_e32 v16, 27, v16
	v_sub_u16_e32 v16, v7, v16
	v_and_b32_e32 v60, 0xff, v16
	v_lshlrev_b32_e32 v24, 5, v60
	global_load_dwordx4 v[16:19], v24, s[4:5] offset:384
	global_load_dwordx4 v[20:23], v24, s[4:5] offset:400
	ds_read_b128 v[24:27], v1 offset:1296
	ds_read_b128 v[28:31], v2
	ds_read_b128 v[32:35], v1 offset:432
	ds_read_b128 v[36:39], v1 offset:864
	;; [unrolled: 1-line block ×4, first 2 shown]
	v_lshl_add_u32 v4, v60, 4, v4
	s_mul_i32 s0, s6, s19
	s_waitcnt vmcnt(3) lgkmcnt(5)
	v_mul_f64 v[48:49], v[26:27], v[10:11]
	v_mul_f64 v[50:51], v[24:25], v[10:11]
	v_fma_f64 v[48:49], v[24:25], v[8:9], -v[48:49]
	v_fmac_f64_e32 v[50:51], v[26:27], v[8:9]
	s_waitcnt lgkmcnt(1)
	v_mul_f64 v[52:53], v[42:43], v[10:11]
	ds_read_b128 v[24:27], v1 offset:2592
	v_fma_f64 v[52:53], v[40:41], v[8:9], -v[52:53]
	v_mul_f64 v[40:41], v[40:41], v[10:11]
	v_fmac_f64_e32 v[40:41], v[42:43], v[8:9]
	ds_read_b128 v[8:11], v1 offset:3024
	s_waitcnt vmcnt(2) lgkmcnt(1)
	v_mul_f64 v[42:43], v[26:27], v[14:15]
	v_fma_f64 v[42:43], v[24:25], v[12:13], -v[42:43]
	v_mul_f64 v[24:25], v[24:25], v[14:15]
	v_fmac_f64_e32 v[24:25], v[26:27], v[12:13]
	s_waitcnt lgkmcnt(0)
	v_mul_f64 v[26:27], v[10:11], v[14:15]
	v_mul_f64 v[54:55], v[8:9], v[14:15]
	v_fma_f64 v[26:27], v[8:9], v[12:13], -v[26:27]
	v_fmac_f64_e32 v[54:55], v[10:11], v[12:13]
	ds_read_b128 v[8:11], v1 offset:3456
	s_waitcnt vmcnt(1)
	v_mul_f64 v[12:13], v[46:47], v[18:19]
	v_fma_f64 v[56:57], v[44:45], v[16:17], -v[12:13]
	v_mul_f64 v[44:45], v[44:45], v[18:19]
	v_fmac_f64_e32 v[44:45], v[46:47], v[16:17]
	s_waitcnt vmcnt(0) lgkmcnt(0)
	v_mul_f64 v[58:59], v[8:9], v[22:23]
	v_mul_f64 v[12:13], v[10:11], v[22:23]
	v_fmac_f64_e32 v[58:59], v[10:11], v[20:21]
	v_add_f64 v[10:11], v[48:49], v[42:43]
	v_fma_f64 v[46:47], v[8:9], v[20:21], -v[12:13]
	v_add_f64 v[8:9], v[28:29], v[48:49]
	v_fmac_f64_e32 v[28:29], -0.5, v[10:11]
	v_add_f64 v[10:11], v[50:51], -v[24:25]
	v_add_f64 v[14:15], v[50:51], v[24:25]
	v_fma_f64 v[12:13], s[8:9], v[10:11], v[28:29]
	v_fmac_f64_e32 v[28:29], s[16:17], v[10:11]
	v_add_f64 v[10:11], v[30:31], v[50:51]
	v_fmac_f64_e32 v[30:31], -0.5, v[14:15]
	v_add_f64 v[16:17], v[48:49], -v[42:43]
	v_add_f64 v[18:19], v[52:53], v[26:27]
	v_fma_f64 v[14:15], s[16:17], v[16:17], v[30:31]
	v_fmac_f64_e32 v[30:31], s[8:9], v[16:17]
	v_add_f64 v[16:17], v[32:33], v[52:53]
	v_fmac_f64_e32 v[32:33], -0.5, v[18:19]
	v_add_f64 v[18:19], v[40:41], -v[54:55]
	v_add_f64 v[22:23], v[40:41], v[54:55]
	v_add_f64 v[10:11], v[10:11], v[24:25]
	;; [unrolled: 1-line block ×3, first 2 shown]
	v_fma_f64 v[20:21], s[8:9], v[18:19], v[32:33]
	v_fmac_f64_e32 v[32:33], s[16:17], v[18:19]
	v_add_f64 v[18:19], v[34:35], v[40:41]
	v_fmac_f64_e32 v[34:35], -0.5, v[22:23]
	v_add_f64 v[24:25], v[52:53], -v[26:27]
	v_add_f64 v[26:27], v[56:57], v[46:47]
	v_fma_f64 v[22:23], s[16:17], v[24:25], v[34:35]
	v_fmac_f64_e32 v[34:35], s[8:9], v[24:25]
	v_add_f64 v[24:25], v[36:37], v[56:57]
	v_fmac_f64_e32 v[36:37], -0.5, v[26:27]
	v_add_f64 v[26:27], v[44:45], -v[58:59]
	v_add_f64 v[8:9], v[8:9], v[42:43]
	v_fma_f64 v[40:41], s[8:9], v[26:27], v[36:37]
	v_fmac_f64_e32 v[36:37], s[16:17], v[26:27]
	v_add_f64 v[26:27], v[38:39], v[44:45]
	v_add_f64 v[42:43], v[44:45], v[58:59]
	;; [unrolled: 1-line block ×4, first 2 shown]
	v_fmac_f64_e32 v[38:39], -0.5, v[42:43]
	v_add_f64 v[44:45], v[56:57], -v[46:47]
	v_add_f64 v[18:19], v[18:19], v[54:55]
	v_fma_f64 v[42:43], s[16:17], v[44:45], v[38:39]
	v_fmac_f64_e32 v[38:39], s[8:9], v[44:45]
	s_barrier
	ds_write_b128 v1, v[8:11]
	ds_write_b128 v1, v[12:15] offset:432
	ds_write_b128 v1, v[28:31] offset:864
	;; [unrolled: 1-line block ×8, first 2 shown]
	s_waitcnt lgkmcnt(0)
	s_barrier
	global_load_dwordx4 v[8:11], v5, s[4:5] offset:1248
	global_load_dwordx4 v[12:15], v5, s[4:5] offset:1264
	v_lshlrev_b32_e32 v4, 5, v6
	global_load_dwordx4 v[16:19], v4, s[4:5] offset:1248
	global_load_dwordx4 v[20:23], v4, s[4:5] offset:1264
	v_lshlrev_b32_e32 v28, 5, v7
	global_load_dwordx4 v[4:7], v28, s[4:5] offset:1248
	global_load_dwordx4 v[24:27], v28, s[4:5] offset:1264
	ds_read_b128 v[28:31], v1 offset:1296
	ds_read_b128 v[32:35], v2
	ds_read_b128 v[36:39], v1 offset:432
	ds_read_b128 v[40:43], v1 offset:2592
	;; [unrolled: 1-line block ×4, first 2 shown]
	v_add_u32_e32 v2, 0x800, v1
	s_mul_i32 s4, s21, s14
	s_mul_i32 s14, s12, s22
	s_mov_b32 s5, s3
	s_waitcnt vmcnt(5) lgkmcnt(5)
	v_mul_f64 v[52:53], v[30:31], v[10:11]
	v_mul_f64 v[54:55], v[28:29], v[10:11]
	v_fma_f64 v[52:53], v[28:29], v[8:9], -v[52:53]
	v_fmac_f64_e32 v[54:55], v[30:31], v[8:9]
	ds_read_b128 v[8:11], v1 offset:1728
	ds_read_b128 v[28:31], v1 offset:2160
	s_waitcnt vmcnt(4) lgkmcnt(4)
	v_mul_f64 v[56:57], v[42:43], v[14:15]
	v_fma_f64 v[56:57], v[40:41], v[12:13], -v[56:57]
	v_mul_f64 v[40:41], v[40:41], v[14:15]
	v_fmac_f64_e32 v[40:41], v[42:43], v[12:13]
	ds_read_b128 v[12:15], v1 offset:3456
	s_waitcnt vmcnt(3) lgkmcnt(2)
	v_mul_f64 v[42:43], v[10:11], v[18:19]
	v_fma_f64 v[42:43], v[8:9], v[16:17], -v[42:43]
	v_mul_f64 v[18:19], v[8:9], v[18:19]
	s_waitcnt vmcnt(2)
	v_mul_f64 v[8:9], v[46:47], v[22:23]
	v_fmac_f64_e32 v[18:19], v[10:11], v[16:17]
	v_fma_f64 v[16:17], v[44:45], v[20:21], -v[8:9]
	v_mul_f64 v[22:23], v[44:45], v[22:23]
	s_waitcnt vmcnt(1) lgkmcnt(1)
	v_mul_f64 v[8:9], v[30:31], v[6:7]
	v_fmac_f64_e32 v[22:23], v[46:47], v[20:21]
	v_fma_f64 v[20:21], v[28:29], v[4:5], -v[8:9]
	v_mul_f64 v[28:29], v[28:29], v[6:7]
	v_fmac_f64_e32 v[28:29], v[30:31], v[4:5]
	s_waitcnt vmcnt(0) lgkmcnt(0)
	v_mul_f64 v[4:5], v[14:15], v[26:27]
	v_add_f64 v[6:7], v[52:53], v[56:57]
	v_fma_f64 v[30:31], v[12:13], v[24:25], -v[4:5]
	v_mul_f64 v[26:27], v[12:13], v[26:27]
	v_add_f64 v[4:5], v[32:33], v[52:53]
	v_fmac_f64_e32 v[32:33], -0.5, v[6:7]
	v_add_f64 v[6:7], v[54:55], -v[40:41]
	v_add_f64 v[10:11], v[54:55], v[40:41]
	v_fmac_f64_e32 v[26:27], v[14:15], v[24:25]
	v_fma_f64 v[8:9], s[8:9], v[6:7], v[32:33]
	v_fmac_f64_e32 v[32:33], s[16:17], v[6:7]
	v_add_f64 v[6:7], v[34:35], v[54:55]
	v_fmac_f64_e32 v[34:35], -0.5, v[10:11]
	v_add_f64 v[12:13], v[52:53], -v[56:57]
	v_add_f64 v[14:15], v[42:43], v[16:17]
	v_fma_f64 v[10:11], s[16:17], v[12:13], v[34:35]
	v_fmac_f64_e32 v[34:35], s[8:9], v[12:13]
	v_add_f64 v[12:13], v[36:37], v[42:43]
	v_fmac_f64_e32 v[36:37], -0.5, v[14:15]
	v_add_f64 v[14:15], v[18:19], -v[22:23]
	v_fma_f64 v[24:25], s[8:9], v[14:15], v[36:37]
	v_fmac_f64_e32 v[36:37], s[16:17], v[14:15]
	v_add_f64 v[14:15], v[38:39], v[18:19]
	v_add_f64 v[18:19], v[18:19], v[22:23]
	;; [unrolled: 1-line block ×3, first 2 shown]
	v_fmac_f64_e32 v[38:39], -0.5, v[18:19]
	v_add_f64 v[16:17], v[42:43], -v[16:17]
	v_add_f64 v[18:19], v[20:21], v[30:31]
	v_add_f64 v[14:15], v[14:15], v[22:23]
	v_fma_f64 v[22:23], s[16:17], v[16:17], v[38:39]
	v_fmac_f64_e32 v[38:39], s[8:9], v[16:17]
	v_add_f64 v[16:17], v[48:49], v[20:21]
	v_fmac_f64_e32 v[48:49], -0.5, v[18:19]
	v_add_f64 v[18:19], v[28:29], -v[26:27]
	v_add_f64 v[6:7], v[6:7], v[40:41]
	v_fma_f64 v[40:41], s[8:9], v[18:19], v[48:49]
	v_fmac_f64_e32 v[48:49], s[16:17], v[18:19]
	v_add_f64 v[18:19], v[50:51], v[28:29]
	v_add_f64 v[18:19], v[18:19], v[26:27]
	;; [unrolled: 1-line block ×4, first 2 shown]
	v_fmac_f64_e32 v[50:51], -0.5, v[26:27]
	v_add_f64 v[20:21], v[20:21], -v[30:31]
	v_add_f64 v[16:17], v[16:17], v[30:31]
	v_fma_f64 v[26:27], s[16:17], v[20:21], v[50:51]
	v_fmac_f64_e32 v[50:51], s[8:9], v[20:21]
	s_barrier
	ds_write_b128 v1, v[4:7]
	ds_write_b128 v1, v[8:11] offset:1296
	ds_write_b128 v1, v[32:35] offset:2592
	;; [unrolled: 1-line block ×3, first 2 shown]
	ds_write2_b64 v1, v[24:25], v[22:23] offset0:216 offset1:217
	ds_write2_b64 v2, v[36:37], v[38:39] offset0:122 offset1:123
	ds_write_b128 v1, v[16:19] offset:864
	ds_write2_b64 v2, v[40:41], v[26:27] offset0:14 offset1:15
	ds_write2_b64 v2, v[48:49], v[50:51] offset0:176 offset1:177
	v_and_b32_e32 v1, 7, v0
	v_mad_u64_u32 v[4:5], s[6:7], s12, v1, 0
	v_mov_b32_e32 v2, v5
	v_mad_u64_u32 v[6:7], s[6:7], s13, v1, v[2:3]
	s_lshl_b64 s[6:7], s[14:15], 4
	v_mad_u32_u24 v1, v1, s2, 0
	s_add_u32 s2, s10, s6
	v_lshrrev_b32_e32 v8, 3, v0
	s_addc_u32 s6, s11, s7
	s_lshl_b64 s[4:5], s[4:5], 4
	v_lshl_add_u32 v16, v8, 4, v1
	s_add_u32 s2, s2, s4
	s_waitcnt lgkmcnt(0)
	s_barrier
	v_mov_b32_e32 v5, v6
	v_mul_lo_u32 v2, v8, s20
	s_addc_u32 s4, s6, s5
	s_lshl_b64 s[0:1], s[0:1], 4
	ds_read_b128 v[6:9], v16
	ds_read_b128 v[10:13], v16 offset:432
	s_add_u32 s0, s2, s0
	s_addc_u32 s1, s4, s1
	v_lshl_add_u64 v[4:5], v[4:5], 4, s[0:1]
	v_lshl_add_u64 v[14:15], v[2:3], 4, v[4:5]
	s_waitcnt lgkmcnt(1)
	global_store_dwordx4 v[14:15], v[6:9], off
	ds_read_b128 v[6:9], v16 offset:864
	s_mul_i32 s0, s20, 27
	v_add_u32_e32 v2, s0, v2
	v_lshl_add_u64 v[14:15], v[2:3], 4, v[4:5]
	v_add_u32_e32 v2, s0, v2
	s_waitcnt lgkmcnt(1)
	global_store_dwordx4 v[14:15], v[10:13], off
	ds_read_b128 v[10:13], v16 offset:1296
	v_lshl_add_u64 v[14:15], v[2:3], 4, v[4:5]
	s_waitcnt lgkmcnt(1)
	global_store_dwordx4 v[14:15], v[6:9], off
	ds_read_b128 v[6:9], v16 offset:1728
	v_add_u32_e32 v2, s0, v2
	v_lshl_add_u64 v[14:15], v[2:3], 4, v[4:5]
	v_add_u32_e32 v2, s0, v2
	s_waitcnt lgkmcnt(1)
	global_store_dwordx4 v[14:15], v[10:13], off
	ds_read_b128 v[10:13], v16 offset:2160
	v_lshl_add_u64 v[14:15], v[2:3], 4, v[4:5]
	s_waitcnt lgkmcnt(1)
	global_store_dwordx4 v[14:15], v[6:9], off
	ds_read_b128 v[6:9], v16 offset:2592
	;; [unrolled: 10-line block ×3, first 2 shown]
	v_add_u32_e32 v2, s0, v2
	v_lshl_add_u64 v[14:15], v[2:3], 4, v[4:5]
	v_add_u32_e32 v2, s0, v2
	v_lshl_add_u64 v[2:3], v[2:3], 4, v[4:5]
	s_waitcnt lgkmcnt(1)
	global_store_dwordx4 v[14:15], v[10:13], off
	s_waitcnt lgkmcnt(0)
	global_store_dwordx4 v[2:3], v[6:9], off
	s_and_saveexec_b64 s[0:1], vcc
	s_cbranch_execz .LBB0_2
; %bb.1:
	ds_read_b128 v[0:3], v1 offset:3888
	s_mul_i32 s2, s20, 0xf3
	v_lshl_add_u64 v[4:5], s[2:3], 4, v[4:5]
	s_waitcnt lgkmcnt(0)
	global_store_dwordx4 v[4:5], v[0:3], off
.LBB0_2:
	s_endpgm
	.section	.rodata,"a",@progbits
	.p2align	6, 0x0
	.amdhsa_kernel fft_rtc_fwd_len243_factors_3_3_3_3_3_wgs_216_tpt_27_dp_op_CI_CI_sbrc_erc_z_xy_aligned
		.amdhsa_group_segment_fixed_size 0
		.amdhsa_private_segment_fixed_size 0
		.amdhsa_kernarg_size 104
		.amdhsa_user_sgpr_count 2
		.amdhsa_user_sgpr_dispatch_ptr 0
		.amdhsa_user_sgpr_queue_ptr 0
		.amdhsa_user_sgpr_kernarg_segment_ptr 1
		.amdhsa_user_sgpr_dispatch_id 0
		.amdhsa_user_sgpr_kernarg_preload_length 0
		.amdhsa_user_sgpr_kernarg_preload_offset 0
		.amdhsa_user_sgpr_private_segment_size 0
		.amdhsa_uses_dynamic_stack 0
		.amdhsa_enable_private_segment 0
		.amdhsa_system_sgpr_workgroup_id_x 1
		.amdhsa_system_sgpr_workgroup_id_y 0
		.amdhsa_system_sgpr_workgroup_id_z 0
		.amdhsa_system_sgpr_workgroup_info 0
		.amdhsa_system_vgpr_workitem_id 0
		.amdhsa_next_free_vgpr 66
		.amdhsa_next_free_sgpr 28
		.amdhsa_accum_offset 68
		.amdhsa_reserve_vcc 1
		.amdhsa_float_round_mode_32 0
		.amdhsa_float_round_mode_16_64 0
		.amdhsa_float_denorm_mode_32 3
		.amdhsa_float_denorm_mode_16_64 3
		.amdhsa_dx10_clamp 1
		.amdhsa_ieee_mode 1
		.amdhsa_fp16_overflow 0
		.amdhsa_tg_split 0
		.amdhsa_exception_fp_ieee_invalid_op 0
		.amdhsa_exception_fp_denorm_src 0
		.amdhsa_exception_fp_ieee_div_zero 0
		.amdhsa_exception_fp_ieee_overflow 0
		.amdhsa_exception_fp_ieee_underflow 0
		.amdhsa_exception_fp_ieee_inexact 0
		.amdhsa_exception_int_div_zero 0
	.end_amdhsa_kernel
	.text
.Lfunc_end0:
	.size	fft_rtc_fwd_len243_factors_3_3_3_3_3_wgs_216_tpt_27_dp_op_CI_CI_sbrc_erc_z_xy_aligned, .Lfunc_end0-fft_rtc_fwd_len243_factors_3_3_3_3_3_wgs_216_tpt_27_dp_op_CI_CI_sbrc_erc_z_xy_aligned
                                        ; -- End function
	.section	.AMDGPU.csdata,"",@progbits
; Kernel info:
; codeLenInByte = 5692
; NumSgprs: 34
; NumVgprs: 66
; NumAgprs: 0
; TotalNumVgprs: 66
; ScratchSize: 0
; MemoryBound: 0
; FloatMode: 240
; IeeeMode: 1
; LDSByteSize: 0 bytes/workgroup (compile time only)
; SGPRBlocks: 4
; VGPRBlocks: 8
; NumSGPRsForWavesPerEU: 34
; NumVGPRsForWavesPerEU: 66
; AccumOffset: 68
; Occupancy: 7
; WaveLimiterHint : 1
; COMPUTE_PGM_RSRC2:SCRATCH_EN: 0
; COMPUTE_PGM_RSRC2:USER_SGPR: 2
; COMPUTE_PGM_RSRC2:TRAP_HANDLER: 0
; COMPUTE_PGM_RSRC2:TGID_X_EN: 1
; COMPUTE_PGM_RSRC2:TGID_Y_EN: 0
; COMPUTE_PGM_RSRC2:TGID_Z_EN: 0
; COMPUTE_PGM_RSRC2:TIDIG_COMP_CNT: 0
; COMPUTE_PGM_RSRC3_GFX90A:ACCUM_OFFSET: 16
; COMPUTE_PGM_RSRC3_GFX90A:TG_SPLIT: 0
	.text
	.p2alignl 6, 3212836864
	.fill 256, 4, 3212836864
	.type	__hip_cuid_cd9c8b7c4f803436,@object ; @__hip_cuid_cd9c8b7c4f803436
	.section	.bss,"aw",@nobits
	.globl	__hip_cuid_cd9c8b7c4f803436
__hip_cuid_cd9c8b7c4f803436:
	.byte	0                               ; 0x0
	.size	__hip_cuid_cd9c8b7c4f803436, 1

	.ident	"AMD clang version 19.0.0git (https://github.com/RadeonOpenCompute/llvm-project roc-6.4.0 25133 c7fe45cf4b819c5991fe208aaa96edf142730f1d)"
	.section	".note.GNU-stack","",@progbits
	.addrsig
	.addrsig_sym __hip_cuid_cd9c8b7c4f803436
	.amdgpu_metadata
---
amdhsa.kernels:
  - .agpr_count:     0
    .args:
      - .actual_access:  read_only
        .address_space:  global
        .offset:         0
        .size:           8
        .value_kind:     global_buffer
      - .offset:         8
        .size:           8
        .value_kind:     by_value
      - .actual_access:  read_only
        .address_space:  global
        .offset:         16
        .size:           8
        .value_kind:     global_buffer
      - .actual_access:  read_only
        .address_space:  global
        .offset:         24
        .size:           8
        .value_kind:     global_buffer
      - .actual_access:  read_only
        .address_space:  global
        .offset:         32
        .size:           8
        .value_kind:     global_buffer
      - .offset:         40
        .size:           8
        .value_kind:     by_value
      - .actual_access:  read_only
        .address_space:  global
        .offset:         48
        .size:           8
        .value_kind:     global_buffer
      - .actual_access:  read_only
        .address_space:  global
        .offset:         56
        .size:           8
        .value_kind:     global_buffer
      - .offset:         64
        .size:           4
        .value_kind:     by_value
      - .actual_access:  read_only
        .address_space:  global
        .offset:         72
        .size:           8
        .value_kind:     global_buffer
      - .actual_access:  read_only
        .address_space:  global
        .offset:         80
        .size:           8
        .value_kind:     global_buffer
      - .actual_access:  read_only
        .address_space:  global
        .offset:         88
        .size:           8
        .value_kind:     global_buffer
      - .actual_access:  write_only
        .address_space:  global
        .offset:         96
        .size:           8
        .value_kind:     global_buffer
    .group_segment_fixed_size: 0
    .kernarg_segment_align: 8
    .kernarg_segment_size: 104
    .language:       OpenCL C
    .language_version:
      - 2
      - 0
    .max_flat_workgroup_size: 216
    .name:           fft_rtc_fwd_len243_factors_3_3_3_3_3_wgs_216_tpt_27_dp_op_CI_CI_sbrc_erc_z_xy_aligned
    .private_segment_fixed_size: 0
    .sgpr_count:     34
    .sgpr_spill_count: 0
    .symbol:         fft_rtc_fwd_len243_factors_3_3_3_3_3_wgs_216_tpt_27_dp_op_CI_CI_sbrc_erc_z_xy_aligned.kd
    .uniform_work_group_size: 1
    .uses_dynamic_stack: false
    .vgpr_count:     66
    .vgpr_spill_count: 0
    .wavefront_size: 64
amdhsa.target:   amdgcn-amd-amdhsa--gfx950
amdhsa.version:
  - 1
  - 2
...

	.end_amdgpu_metadata
